;; amdgpu-corpus repo=ROCm/aiter kind=compiled arch=gfx942 opt=O3
	.text
	.amdgcn_target "amdgcn-amd-amdhsa--gfx942"
	.amdhsa_code_object_version 6
	.section	.text._Z19mfma_kernel_genericIDF16_DF16_Li32ELi32ELi8EEvPKT_S2_PT0_iiii,"axG",@progbits,_Z19mfma_kernel_genericIDF16_DF16_Li32ELi32ELi8EEvPKT_S2_PT0_iiii,comdat
	.protected	_Z19mfma_kernel_genericIDF16_DF16_Li32ELi32ELi8EEvPKT_S2_PT0_iiii ; -- Begin function _Z19mfma_kernel_genericIDF16_DF16_Li32ELi32ELi8EEvPKT_S2_PT0_iiii
	.globl	_Z19mfma_kernel_genericIDF16_DF16_Li32ELi32ELi8EEvPKT_S2_PT0_iiii
	.p2align	8
	.type	_Z19mfma_kernel_genericIDF16_DF16_Li32ELi32ELi8EEvPKT_S2_PT0_iiii,@function
_Z19mfma_kernel_genericIDF16_DF16_Li32ELi32ELi8EEvPKT_S2_PT0_iiii: ; @_Z19mfma_kernel_genericIDF16_DF16_Li32ELi32ELi8EEvPKT_S2_PT0_iiii
; %bb.0:
	s_load_dwordx2 s[14:15], s[0:1], 0x10
	s_load_dwordx4 s[4:7], s[0:1], 0x18
	s_lshl_b32 s13, s2, 5
	s_lshl_b32 s12, s3, 5
	v_lshrrev_b32_e32 v2, 1, v0
	v_lshrrev_b32_e32 v18, 7, v0
	v_and_b32_e32 v1, 31, v0
	s_waitcnt lgkmcnt(0)
	s_cmp_lt_i32 s4, 1
	v_and_b32_e32 v19, 32, v2
	s_cbranch_scc1 .LBB0_3
; %bb.1:
	s_load_dwordx4 s[8:11], s[0:1], 0x0
	s_mul_i32 s0, s13, s5
	s_ashr_i32 s1, s0, 31
	s_lshl_b64 s[0:1], s[0:1], 1
	v_lshl_or_b32 v2, v18, 5, v1
	s_waitcnt lgkmcnt(0)
	s_add_u32 s0, s8, s0
	s_mul_i32 s8, s12, s6
	v_lshrrev_b32_e32 v3, 2, v0
	s_addc_u32 s1, s9, s1
	s_ashr_i32 s9, s8, 31
	v_mul_lo_u32 v2, s5, v2
	v_and_b32_e32 v3, 8, v3
	s_and_b32 s1, s1, 0xffff
	s_lshl_b64 s[8:9], s[8:9], 1
	v_lshl_add_u32 v20, v2, 1, v3
	v_add_u32_e32 v2, v19, v1
	s_add_u32 s8, s10, s8
	v_mul_lo_u32 v2, s6, v2
	s_mov_b32 s3, 0x20000
	s_mov_b32 s2, -1
	s_addc_u32 s9, s11, s9
	s_add_i32 s4, s4, 7
	v_lshl_add_u32 v21, v2, 1, v3
	v_mov_b32_e32 v2, 0
	s_and_b32 s9, s9, 0xffff
	s_lshr_b32 s4, s4, 3
	s_mov_b32 s10, s2
	s_mov_b32 s11, s3
	v_mov_b32_e32 v3, v2
	v_mov_b32_e32 v4, v2
	;; [unrolled: 1-line block ×15, first 2 shown]
.LBB0_2:                                ; =>This Inner Loop Header: Depth=1
	buffer_load_dwordx2 v[22:23], v21, s[8:11], 0 offen
	buffer_load_dwordx2 v[24:25], v20, s[0:3], 0 offen
	s_add_i32 s4, s4, -1
	v_add_u32_e32 v20, 16, v20
	s_cmp_eq_u32 s4, 0
	v_add_u32_e32 v21, 16, v21
	s_waitcnt vmcnt(0)
	v_mfma_f32_32x32x8_f16 v[2:17], v[22:23], v[24:25], v[2:17]
	s_cbranch_scc0 .LBB0_2
	s_branch .LBB0_4
.LBB0_3:
	v_mov_b32_e32 v17, 0
	v_mov_b32_e32 v16, v17
	;; [unrolled: 1-line block ×16, first 2 shown]
.LBB0_4:
	s_nop 7
	s_nop 0
	v_cvt_f16_f32_e32 v20, v3
	v_cvt_f16_f32_e32 v3, v4
	;; [unrolled: 1-line block ×7, first 2 shown]
	s_mul_i32 s0, s13, s7
	s_ashr_i32 s1, s0, 31
	v_pack_b32_f16 v3, v3, v4
	v_pack_b32_f16 v5, v5, v8
	;; [unrolled: 1-line block ×3, first 2 shown]
	v_cvt_f16_f32_e32 v6, v10
	v_cvt_f16_f32_e32 v8, v11
	;; [unrolled: 1-line block ×5, first 2 shown]
	s_lshl_b64 s[0:1], s[0:1], 1
	s_add_u32 s2, s14, s0
	s_addc_u32 s3, s15, s1
	s_ashr_i32 s13, s12, 31
	v_cvt_f16_f32_e32 v2, v2
	v_lshrrev_b32_e32 v0, 3, v0
	s_lshl_b64 s[0:1], s[12:13], 1
	v_cvt_f16_f32_e32 v7, v12
	v_cvt_f16_f32_e32 v11, v16
	;; [unrolled: 1-line block ×3, first 2 shown]
	v_pack_b32_f16 v6, v6, v8
	v_pack_b32_f16 v8, v10, v13
	v_mul_lo_u32 v10, s7, v18
	v_and_b32_e32 v0, 4, v0
	s_add_u32 s0, s2, s0
	v_lshlrev_b32_e32 v10, 5, v10
	v_mul_lo_u32 v1, v1, s7
	s_addc_u32 s1, s3, s1
	v_add3_u32 v0, v10, v1, v0
	s_and_b32 s1, s1, 0xffff
	s_mov_b32 s3, 0x20000
	s_mov_b32 s2, -1
	v_pack_b32_f16 v2, v2, v20
	v_add_lshl_u32 v0, v0, v19, 1
	v_pack_b32_f16 v7, v7, v9
	v_pack_b32_f16 v9, v11, v12
	buffer_store_dwordx2 v[2:3], v0, s[0:3], 0 offen
	buffer_store_dwordx2 v[4:5], v0, s[0:3], 0 offen offset:16
	buffer_store_dwordx2 v[6:7], v0, s[0:3], 0 offen offset:32
	;; [unrolled: 1-line block ×3, first 2 shown]
	s_endpgm
	.section	.rodata,"a",@progbits
	.p2align	6, 0x0
	.amdhsa_kernel _Z19mfma_kernel_genericIDF16_DF16_Li32ELi32ELi8EEvPKT_S2_PT0_iiii
		.amdhsa_group_segment_fixed_size 0
		.amdhsa_private_segment_fixed_size 0
		.amdhsa_kernarg_size 40
		.amdhsa_user_sgpr_count 2
		.amdhsa_user_sgpr_dispatch_ptr 0
		.amdhsa_user_sgpr_queue_ptr 0
		.amdhsa_user_sgpr_kernarg_segment_ptr 1
		.amdhsa_user_sgpr_dispatch_id 0
		.amdhsa_user_sgpr_kernarg_preload_length 0
		.amdhsa_user_sgpr_kernarg_preload_offset 0
		.amdhsa_user_sgpr_private_segment_size 0
		.amdhsa_uses_dynamic_stack 0
		.amdhsa_enable_private_segment 0
		.amdhsa_system_sgpr_workgroup_id_x 1
		.amdhsa_system_sgpr_workgroup_id_y 1
		.amdhsa_system_sgpr_workgroup_id_z 0
		.amdhsa_system_sgpr_workgroup_info 0
		.amdhsa_system_vgpr_workitem_id 0
		.amdhsa_next_free_vgpr 26
		.amdhsa_next_free_sgpr 16
		.amdhsa_accum_offset 28
		.amdhsa_reserve_vcc 0
		.amdhsa_float_round_mode_32 0
		.amdhsa_float_round_mode_16_64 0
		.amdhsa_float_denorm_mode_32 3
		.amdhsa_float_denorm_mode_16_64 3
		.amdhsa_dx10_clamp 1
		.amdhsa_ieee_mode 1
		.amdhsa_fp16_overflow 0
		.amdhsa_tg_split 0
		.amdhsa_exception_fp_ieee_invalid_op 0
		.amdhsa_exception_fp_denorm_src 0
		.amdhsa_exception_fp_ieee_div_zero 0
		.amdhsa_exception_fp_ieee_overflow 0
		.amdhsa_exception_fp_ieee_underflow 0
		.amdhsa_exception_fp_ieee_inexact 0
		.amdhsa_exception_int_div_zero 0
	.end_amdhsa_kernel
	.section	.text._Z19mfma_kernel_genericIDF16_DF16_Li32ELi32ELi8EEvPKT_S2_PT0_iiii,"axG",@progbits,_Z19mfma_kernel_genericIDF16_DF16_Li32ELi32ELi8EEvPKT_S2_PT0_iiii,comdat
.Lfunc_end0:
	.size	_Z19mfma_kernel_genericIDF16_DF16_Li32ELi32ELi8EEvPKT_S2_PT0_iiii, .Lfunc_end0-_Z19mfma_kernel_genericIDF16_DF16_Li32ELi32ELi8EEvPKT_S2_PT0_iiii
                                        ; -- End function
	.section	.AMDGPU.csdata,"",@progbits
; Kernel info:
; codeLenInByte = 652
; NumSgprs: 22
; NumVgprs: 26
; NumAgprs: 0
; TotalNumVgprs: 26
; ScratchSize: 0
; MemoryBound: 0
; FloatMode: 240
; IeeeMode: 1
; LDSByteSize: 0 bytes/workgroup (compile time only)
; SGPRBlocks: 2
; VGPRBlocks: 3
; NumSGPRsForWavesPerEU: 22
; NumVGPRsForWavesPerEU: 26
; AccumOffset: 28
; Occupancy: 8
; WaveLimiterHint : 0
; COMPUTE_PGM_RSRC2:SCRATCH_EN: 0
; COMPUTE_PGM_RSRC2:USER_SGPR: 2
; COMPUTE_PGM_RSRC2:TRAP_HANDLER: 0
; COMPUTE_PGM_RSRC2:TGID_X_EN: 1
; COMPUTE_PGM_RSRC2:TGID_Y_EN: 1
; COMPUTE_PGM_RSRC2:TGID_Z_EN: 0
; COMPUTE_PGM_RSRC2:TIDIG_COMP_CNT: 0
; COMPUTE_PGM_RSRC3_GFX90A:ACCUM_OFFSET: 6
; COMPUTE_PGM_RSRC3_GFX90A:TG_SPLIT: 0
	.section	.text._Z19mfma_kernel_genericIttLi32ELi32ELi8EEvPKT_S2_PT0_iiii,"axG",@progbits,_Z19mfma_kernel_genericIttLi32ELi32ELi8EEvPKT_S2_PT0_iiii,comdat
	.protected	_Z19mfma_kernel_genericIttLi32ELi32ELi8EEvPKT_S2_PT0_iiii ; -- Begin function _Z19mfma_kernel_genericIttLi32ELi32ELi8EEvPKT_S2_PT0_iiii
	.globl	_Z19mfma_kernel_genericIttLi32ELi32ELi8EEvPKT_S2_PT0_iiii
	.p2align	8
	.type	_Z19mfma_kernel_genericIttLi32ELi32ELi8EEvPKT_S2_PT0_iiii,@function
_Z19mfma_kernel_genericIttLi32ELi32ELi8EEvPKT_S2_PT0_iiii: ; @_Z19mfma_kernel_genericIttLi32ELi32ELi8EEvPKT_S2_PT0_iiii
; %bb.0:
	s_load_dwordx2 s[14:15], s[0:1], 0x10
	s_load_dwordx4 s[4:7], s[0:1], 0x18
	s_lshl_b32 s13, s2, 5
	s_lshl_b32 s12, s3, 5
	v_lshrrev_b32_e32 v2, 1, v0
	v_mov_b32_e32 v17, 0
	v_lshrrev_b32_e32 v19, 7, v0
	v_and_b32_e32 v1, 31, v0
	v_and_b32_e32 v18, 32, v2
	s_waitcnt lgkmcnt(0)
	s_cmp_lt_i32 s4, 1
	v_mov_b32_e32 v16, v17
	v_mov_b32_e32 v15, v17
	;; [unrolled: 1-line block ×15, first 2 shown]
	s_cbranch_scc1 .LBB1_3
; %bb.1:
	s_load_dwordx4 s[8:11], s[0:1], 0x0
	s_mul_i32 s0, s13, s5
	s_ashr_i32 s1, s0, 31
	s_lshl_b64 s[0:1], s[0:1], 1
	v_lshl_or_b32 v2, v19, 5, v1
	s_waitcnt lgkmcnt(0)
	s_add_u32 s0, s8, s0
	s_mul_i32 s8, s12, s6
	v_lshrrev_b32_e32 v3, 2, v0
	s_addc_u32 s1, s9, s1
	s_ashr_i32 s9, s8, 31
	v_mul_lo_u32 v2, s5, v2
	v_and_b32_e32 v3, 8, v3
	s_and_b32 s1, s1, 0xffff
	s_lshl_b64 s[8:9], s[8:9], 1
	v_lshl_add_u32 v20, v2, 1, v3
	v_add_u32_e32 v2, v18, v1
	s_add_u32 s8, s10, s8
	v_mul_lo_u32 v2, s6, v2
	s_mov_b32 s3, 0x20000
	s_mov_b32 s2, -1
	s_addc_u32 s9, s11, s9
	s_add_i32 s4, s4, 7
	v_lshl_add_u32 v21, v2, 1, v3
	v_mov_b32_e32 v2, 0
	s_and_b32 s9, s9, 0xffff
	s_lshr_b32 s4, s4, 3
	s_mov_b32 s10, s2
	s_mov_b32 s11, s3
	v_mov_b32_e32 v3, v2
	v_mov_b32_e32 v4, v2
	;; [unrolled: 1-line block ×15, first 2 shown]
.LBB1_2:                                ; =>This Inner Loop Header: Depth=1
	buffer_load_dwordx2 v[22:23], v21, s[8:11], 0 offen
	buffer_load_dwordx2 v[24:25], v20, s[0:3], 0 offen
	s_add_i32 s4, s4, -1
	v_add_u32_e32 v20, 16, v20
	s_cmp_eq_u32 s4, 0
	v_add_u32_e32 v21, 16, v21
	s_waitcnt vmcnt(0)
	v_mfma_f32_32x32x8_bf16 v[2:17], v[22:23], v[24:25], v[2:17]
	s_cbranch_scc0 .LBB1_2
.LBB1_3:
	s_mov_b32 s0, 0x7f800000
	s_nop 7
	s_nop 0
	v_and_b32_e32 v20, 0x7f800000, v2
	v_cmp_ne_u32_e32 vcc, s0, v20
                                        ; implicit-def: $vgpr20
	s_and_saveexec_b64 s[0:1], vcc
	s_xor_b64 s[0:1], exec, s[0:1]
; %bb.4:
	v_bfe_u32 v20, v2, 16, 1
	s_movk_i32 s2, 0x7fff
	v_add3_u32 v20, v2, v20, s2
; %bb.5:
	s_andn2_saveexec_b64 s[0:1], s[0:1]
; %bb.6:
	v_mov_b32_e32 v20, 0
	v_or_b32_e32 v21, 0x10000, v2
	v_cmp_eq_u32_sdwa vcc, v2, v20 src0_sel:WORD_0 src1_sel:DWORD
	s_nop 1
	v_cndmask_b32_e32 v20, v21, v2, vcc
; %bb.7:
	s_or_b64 exec, exec, s[0:1]
	s_mov_b32 s0, 0x7f800000
	v_and_b32_e32 v2, 0x7f800000, v3
	v_cmp_ne_u32_e32 vcc, s0, v2
                                        ; implicit-def: $vgpr2
	s_and_saveexec_b64 s[0:1], vcc
	s_xor_b64 s[0:1], exec, s[0:1]
; %bb.8:
	v_bfe_u32 v2, v3, 16, 1
	s_movk_i32 s2, 0x7fff
	v_add3_u32 v2, v3, v2, s2
; %bb.9:
	s_andn2_saveexec_b64 s[0:1], s[0:1]
; %bb.10:
	v_mov_b32_e32 v2, 0
	v_or_b32_e32 v21, 0x10000, v3
	v_cmp_eq_u32_sdwa vcc, v3, v2 src0_sel:WORD_0 src1_sel:DWORD
	s_nop 1
	v_cndmask_b32_e32 v2, v21, v3, vcc
; %bb.11:
	s_or_b64 exec, exec, s[0:1]
	s_mov_b32 s0, 0x7f800000
	v_and_b32_e32 v3, 0x7f800000, v4
	v_cmp_ne_u32_e32 vcc, s0, v3
                                        ; implicit-def: $vgpr3
	s_and_saveexec_b64 s[0:1], vcc
	s_xor_b64 s[0:1], exec, s[0:1]
; %bb.12:
	v_bfe_u32 v3, v4, 16, 1
	s_movk_i32 s2, 0x7fff
	v_add3_u32 v3, v4, v3, s2
; %bb.13:
	s_andn2_saveexec_b64 s[0:1], s[0:1]
; %bb.14:
	v_mov_b32_e32 v3, 0
	v_or_b32_e32 v21, 0x10000, v4
	v_cmp_eq_u32_sdwa vcc, v4, v3 src0_sel:WORD_0 src1_sel:DWORD
	s_nop 1
	v_cndmask_b32_e32 v3, v21, v4, vcc
; %bb.15:
	s_or_b64 exec, exec, s[0:1]
	s_mov_b32 s0, 0x7f800000
	v_and_b32_e32 v4, 0x7f800000, v5
	v_cmp_ne_u32_e32 vcc, s0, v4
                                        ; implicit-def: $vgpr4
	s_and_saveexec_b64 s[0:1], vcc
	s_xor_b64 s[0:1], exec, s[0:1]
; %bb.16:
	v_bfe_u32 v4, v5, 16, 1
	s_movk_i32 s2, 0x7fff
	v_add3_u32 v4, v5, v4, s2
; %bb.17:
	s_andn2_saveexec_b64 s[0:1], s[0:1]
; %bb.18:
	v_mov_b32_e32 v4, 0
	v_or_b32_e32 v21, 0x10000, v5
	v_cmp_eq_u32_sdwa vcc, v5, v4 src0_sel:WORD_0 src1_sel:DWORD
	s_nop 1
	v_cndmask_b32_e32 v4, v21, v5, vcc
; %bb.19:
	s_or_b64 exec, exec, s[0:1]
	s_mov_b32 s0, 0x7f800000
	v_and_b32_e32 v5, 0x7f800000, v6
	v_cmp_ne_u32_e32 vcc, s0, v5
                                        ; implicit-def: $vgpr5
	s_and_saveexec_b64 s[0:1], vcc
	s_xor_b64 s[0:1], exec, s[0:1]
; %bb.20:
	v_bfe_u32 v5, v6, 16, 1
	s_movk_i32 s2, 0x7fff
	v_add3_u32 v5, v6, v5, s2
; %bb.21:
	s_andn2_saveexec_b64 s[0:1], s[0:1]
; %bb.22:
	v_mov_b32_e32 v5, 0
	v_or_b32_e32 v21, 0x10000, v6
	v_cmp_eq_u32_sdwa vcc, v6, v5 src0_sel:WORD_0 src1_sel:DWORD
	s_nop 1
	v_cndmask_b32_e32 v5, v21, v6, vcc
; %bb.23:
	s_or_b64 exec, exec, s[0:1]
	s_mov_b32 s0, 0x7f800000
	v_and_b32_e32 v6, 0x7f800000, v7
	v_cmp_ne_u32_e32 vcc, s0, v6
                                        ; implicit-def: $vgpr6
	s_and_saveexec_b64 s[0:1], vcc
	s_xor_b64 s[0:1], exec, s[0:1]
; %bb.24:
	v_bfe_u32 v6, v7, 16, 1
	s_movk_i32 s2, 0x7fff
	v_add3_u32 v6, v7, v6, s2
; %bb.25:
	s_andn2_saveexec_b64 s[0:1], s[0:1]
; %bb.26:
	v_mov_b32_e32 v6, 0
	v_or_b32_e32 v21, 0x10000, v7
	v_cmp_eq_u32_sdwa vcc, v7, v6 src0_sel:WORD_0 src1_sel:DWORD
	s_nop 1
	v_cndmask_b32_e32 v6, v21, v7, vcc
; %bb.27:
	s_or_b64 exec, exec, s[0:1]
	s_mov_b32 s0, 0x7f800000
	v_and_b32_e32 v7, 0x7f800000, v8
	v_cmp_ne_u32_e32 vcc, s0, v7
                                        ; implicit-def: $vgpr7
	s_and_saveexec_b64 s[0:1], vcc
	s_xor_b64 s[0:1], exec, s[0:1]
; %bb.28:
	v_bfe_u32 v7, v8, 16, 1
	s_movk_i32 s2, 0x7fff
	v_add3_u32 v7, v8, v7, s2
; %bb.29:
	s_andn2_saveexec_b64 s[0:1], s[0:1]
; %bb.30:
	v_mov_b32_e32 v7, 0
	v_or_b32_e32 v21, 0x10000, v8
	v_cmp_eq_u32_sdwa vcc, v8, v7 src0_sel:WORD_0 src1_sel:DWORD
	s_nop 1
	v_cndmask_b32_e32 v7, v21, v8, vcc
; %bb.31:
	s_or_b64 exec, exec, s[0:1]
	s_mov_b32 s0, 0x7f800000
	v_and_b32_e32 v8, 0x7f800000, v9
	v_cmp_ne_u32_e32 vcc, s0, v8
                                        ; implicit-def: $vgpr8
	s_and_saveexec_b64 s[0:1], vcc
	s_xor_b64 s[0:1], exec, s[0:1]
; %bb.32:
	v_bfe_u32 v8, v9, 16, 1
	s_movk_i32 s2, 0x7fff
	v_add3_u32 v8, v9, v8, s2
; %bb.33:
	s_andn2_saveexec_b64 s[0:1], s[0:1]
; %bb.34:
	v_mov_b32_e32 v8, 0
	v_or_b32_e32 v21, 0x10000, v9
	v_cmp_eq_u32_sdwa vcc, v9, v8 src0_sel:WORD_0 src1_sel:DWORD
	s_nop 1
	v_cndmask_b32_e32 v8, v21, v9, vcc
; %bb.35:
	s_or_b64 exec, exec, s[0:1]
	s_mov_b32 s0, 0x7f800000
	v_and_b32_e32 v9, 0x7f800000, v10
	v_cmp_ne_u32_e32 vcc, s0, v9
                                        ; implicit-def: $vgpr9
	s_and_saveexec_b64 s[0:1], vcc
	s_xor_b64 s[0:1], exec, s[0:1]
; %bb.36:
	v_bfe_u32 v9, v10, 16, 1
	s_movk_i32 s2, 0x7fff
	v_add3_u32 v9, v10, v9, s2
; %bb.37:
	s_andn2_saveexec_b64 s[0:1], s[0:1]
; %bb.38:
	v_mov_b32_e32 v9, 0
	v_or_b32_e32 v21, 0x10000, v10
	v_cmp_eq_u32_sdwa vcc, v10, v9 src0_sel:WORD_0 src1_sel:DWORD
	s_nop 1
	v_cndmask_b32_e32 v9, v21, v10, vcc
; %bb.39:
	s_or_b64 exec, exec, s[0:1]
	s_mov_b32 s0, 0x7f800000
	v_and_b32_e32 v10, 0x7f800000, v11
	v_cmp_ne_u32_e32 vcc, s0, v10
                                        ; implicit-def: $vgpr10
	s_and_saveexec_b64 s[0:1], vcc
	s_xor_b64 s[0:1], exec, s[0:1]
; %bb.40:
	v_bfe_u32 v10, v11, 16, 1
	s_movk_i32 s2, 0x7fff
	v_add3_u32 v10, v11, v10, s2
; %bb.41:
	s_andn2_saveexec_b64 s[0:1], s[0:1]
; %bb.42:
	v_mov_b32_e32 v10, 0
	v_or_b32_e32 v21, 0x10000, v11
	v_cmp_eq_u32_sdwa vcc, v11, v10 src0_sel:WORD_0 src1_sel:DWORD
	s_nop 1
	v_cndmask_b32_e32 v10, v21, v11, vcc
; %bb.43:
	s_or_b64 exec, exec, s[0:1]
	s_mov_b32 s0, 0x7f800000
	v_and_b32_e32 v11, 0x7f800000, v12
	v_cmp_ne_u32_e32 vcc, s0, v11
                                        ; implicit-def: $vgpr11
	s_and_saveexec_b64 s[0:1], vcc
	s_xor_b64 s[0:1], exec, s[0:1]
; %bb.44:
	v_bfe_u32 v11, v12, 16, 1
	s_movk_i32 s2, 0x7fff
	v_add3_u32 v11, v12, v11, s2
; %bb.45:
	s_andn2_saveexec_b64 s[0:1], s[0:1]
; %bb.46:
	v_mov_b32_e32 v11, 0
	v_or_b32_e32 v21, 0x10000, v12
	v_cmp_eq_u32_sdwa vcc, v12, v11 src0_sel:WORD_0 src1_sel:DWORD
	s_nop 1
	v_cndmask_b32_e32 v11, v21, v12, vcc
; %bb.47:
	s_or_b64 exec, exec, s[0:1]
	s_mov_b32 s0, 0x7f800000
	v_and_b32_e32 v12, 0x7f800000, v13
	v_cmp_ne_u32_e32 vcc, s0, v12
                                        ; implicit-def: $vgpr12
	s_and_saveexec_b64 s[0:1], vcc
	s_xor_b64 s[0:1], exec, s[0:1]
; %bb.48:
	v_bfe_u32 v12, v13, 16, 1
	s_movk_i32 s2, 0x7fff
	v_add3_u32 v12, v13, v12, s2
; %bb.49:
	s_andn2_saveexec_b64 s[0:1], s[0:1]
; %bb.50:
	v_mov_b32_e32 v12, 0
	v_or_b32_e32 v21, 0x10000, v13
	v_cmp_eq_u32_sdwa vcc, v13, v12 src0_sel:WORD_0 src1_sel:DWORD
	s_nop 1
	v_cndmask_b32_e32 v12, v21, v13, vcc
; %bb.51:
	s_or_b64 exec, exec, s[0:1]
	s_mov_b32 s0, 0x7f800000
	v_and_b32_e32 v13, 0x7f800000, v14
	v_cmp_ne_u32_e32 vcc, s0, v13
                                        ; implicit-def: $vgpr13
	s_and_saveexec_b64 s[0:1], vcc
	s_xor_b64 s[0:1], exec, s[0:1]
; %bb.52:
	v_bfe_u32 v13, v14, 16, 1
	s_movk_i32 s2, 0x7fff
	v_add3_u32 v13, v14, v13, s2
; %bb.53:
	s_andn2_saveexec_b64 s[0:1], s[0:1]
; %bb.54:
	v_mov_b32_e32 v13, 0
	v_or_b32_e32 v21, 0x10000, v14
	v_cmp_eq_u32_sdwa vcc, v14, v13 src0_sel:WORD_0 src1_sel:DWORD
	s_nop 1
	v_cndmask_b32_e32 v13, v21, v14, vcc
; %bb.55:
	s_or_b64 exec, exec, s[0:1]
	s_mov_b32 s0, 0x7f800000
	v_and_b32_e32 v14, 0x7f800000, v15
	v_cmp_ne_u32_e32 vcc, s0, v14
                                        ; implicit-def: $vgpr14
	s_and_saveexec_b64 s[0:1], vcc
	s_xor_b64 s[0:1], exec, s[0:1]
; %bb.56:
	v_bfe_u32 v14, v15, 16, 1
	s_movk_i32 s2, 0x7fff
	v_add3_u32 v14, v15, v14, s2
; %bb.57:
	s_andn2_saveexec_b64 s[0:1], s[0:1]
; %bb.58:
	v_mov_b32_e32 v14, 0
	v_or_b32_e32 v21, 0x10000, v15
	v_cmp_eq_u32_sdwa vcc, v15, v14 src0_sel:WORD_0 src1_sel:DWORD
	s_nop 1
	v_cndmask_b32_e32 v14, v21, v15, vcc
; %bb.59:
	s_or_b64 exec, exec, s[0:1]
	s_mov_b32 s0, 0x7f800000
	v_and_b32_e32 v15, 0x7f800000, v16
	v_cmp_ne_u32_e32 vcc, s0, v15
                                        ; implicit-def: $vgpr15
	s_and_saveexec_b64 s[0:1], vcc
	s_xor_b64 s[0:1], exec, s[0:1]
; %bb.60:
	v_bfe_u32 v15, v16, 16, 1
	s_movk_i32 s2, 0x7fff
	v_add3_u32 v15, v16, v15, s2
; %bb.61:
	s_andn2_saveexec_b64 s[0:1], s[0:1]
; %bb.62:
	v_mov_b32_e32 v15, 0
	v_or_b32_e32 v21, 0x10000, v16
	v_cmp_eq_u32_sdwa vcc, v16, v15 src0_sel:WORD_0 src1_sel:DWORD
	s_nop 1
	v_cndmask_b32_e32 v15, v21, v16, vcc
; %bb.63:
	s_or_b64 exec, exec, s[0:1]
	s_mov_b32 s0, 0x7f800000
	v_and_b32_e32 v16, 0x7f800000, v17
	v_cmp_ne_u32_e32 vcc, s0, v16
                                        ; implicit-def: $vgpr16
	s_and_saveexec_b64 s[0:1], vcc
	s_xor_b64 s[0:1], exec, s[0:1]
; %bb.64:
	v_bfe_u32 v16, v17, 16, 1
	s_movk_i32 s2, 0x7fff
	v_add3_u32 v16, v17, v16, s2
                                        ; implicit-def: $vgpr17
; %bb.65:
	s_andn2_saveexec_b64 s[0:1], s[0:1]
; %bb.66:
	v_mov_b32_e32 v16, 0
	v_or_b32_e32 v21, 0x10000, v17
	v_cmp_eq_u32_sdwa vcc, v17, v16 src0_sel:WORD_0 src1_sel:DWORD
	s_nop 1
	v_cndmask_b32_e32 v16, v21, v17, vcc
; %bb.67:
	s_or_b64 exec, exec, s[0:1]
	s_mul_i32 s0, s13, s7
	s_ashr_i32 s1, s0, 31
	s_lshl_b64 s[0:1], s[0:1], 1
	s_add_u32 s2, s14, s0
	s_addc_u32 s3, s15, s1
	s_ashr_i32 s13, s12, 31
	s_mov_b32 s4, 0x7060302
	v_lshrrev_b32_e32 v0, 3, v0
	s_lshl_b64 s[0:1], s[12:13], 1
	v_perm_b32 v3, v4, v3, s4
	v_perm_b32 v4, v10, v9, s4
	v_mul_lo_u32 v10, s7, v19
	v_and_b32_e32 v0, 4, v0
	s_add_u32 s0, s2, s0
	v_lshlrev_b32_e32 v10, 5, v10
	v_mul_lo_u32 v1, v1, s7
	s_addc_u32 s1, s3, s1
	v_add3_u32 v0, v10, v1, v0
	s_and_b32 s1, s1, 0xffff
	s_mov_b32 s3, 0x20000
	s_mov_b32 s2, -1
	v_perm_b32 v2, v2, v20, s4
	v_add_lshl_u32 v0, v0, v18, 1
	v_perm_b32 v7, v8, v7, s4
	v_perm_b32 v6, v6, v5, s4
	;; [unrolled: 1-line block ×5, first 2 shown]
	buffer_store_dwordx2 v[2:3], v0, s[0:3], 0 offen
	buffer_store_dwordx2 v[6:7], v0, s[0:3], 0 offen offset:16
	buffer_store_dwordx2 v[4:5], v0, s[0:3], 0 offen offset:32
	;; [unrolled: 1-line block ×3, first 2 shown]
	s_endpgm
	.section	.rodata,"a",@progbits
	.p2align	6, 0x0
	.amdhsa_kernel _Z19mfma_kernel_genericIttLi32ELi32ELi8EEvPKT_S2_PT0_iiii
		.amdhsa_group_segment_fixed_size 0
		.amdhsa_private_segment_fixed_size 0
		.amdhsa_kernarg_size 40
		.amdhsa_user_sgpr_count 2
		.amdhsa_user_sgpr_dispatch_ptr 0
		.amdhsa_user_sgpr_queue_ptr 0
		.amdhsa_user_sgpr_kernarg_segment_ptr 1
		.amdhsa_user_sgpr_dispatch_id 0
		.amdhsa_user_sgpr_kernarg_preload_length 0
		.amdhsa_user_sgpr_kernarg_preload_offset 0
		.amdhsa_user_sgpr_private_segment_size 0
		.amdhsa_uses_dynamic_stack 0
		.amdhsa_enable_private_segment 0
		.amdhsa_system_sgpr_workgroup_id_x 1
		.amdhsa_system_sgpr_workgroup_id_y 1
		.amdhsa_system_sgpr_workgroup_id_z 0
		.amdhsa_system_sgpr_workgroup_info 0
		.amdhsa_system_vgpr_workitem_id 0
		.amdhsa_next_free_vgpr 26
		.amdhsa_next_free_sgpr 16
		.amdhsa_accum_offset 28
		.amdhsa_reserve_vcc 1
		.amdhsa_float_round_mode_32 0
		.amdhsa_float_round_mode_16_64 0
		.amdhsa_float_denorm_mode_32 3
		.amdhsa_float_denorm_mode_16_64 3
		.amdhsa_dx10_clamp 1
		.amdhsa_ieee_mode 1
		.amdhsa_fp16_overflow 0
		.amdhsa_tg_split 0
		.amdhsa_exception_fp_ieee_invalid_op 0
		.amdhsa_exception_fp_denorm_src 0
		.amdhsa_exception_fp_ieee_div_zero 0
		.amdhsa_exception_fp_ieee_overflow 0
		.amdhsa_exception_fp_ieee_underflow 0
		.amdhsa_exception_fp_ieee_inexact 0
		.amdhsa_exception_int_div_zero 0
	.end_amdhsa_kernel
	.section	.text._Z19mfma_kernel_genericIttLi32ELi32ELi8EEvPKT_S2_PT0_iiii,"axG",@progbits,_Z19mfma_kernel_genericIttLi32ELi32ELi8EEvPKT_S2_PT0_iiii,comdat
.Lfunc_end1:
	.size	_Z19mfma_kernel_genericIttLi32ELi32ELi8EEvPKT_S2_PT0_iiii, .Lfunc_end1-_Z19mfma_kernel_genericIttLi32ELi32ELi8EEvPKT_S2_PT0_iiii
                                        ; -- End function
	.section	.AMDGPU.csdata,"",@progbits
; Kernel info:
; codeLenInByte = 1936
; NumSgprs: 22
; NumVgprs: 26
; NumAgprs: 0
; TotalNumVgprs: 26
; ScratchSize: 0
; MemoryBound: 0
; FloatMode: 240
; IeeeMode: 1
; LDSByteSize: 0 bytes/workgroup (compile time only)
; SGPRBlocks: 2
; VGPRBlocks: 3
; NumSGPRsForWavesPerEU: 22
; NumVGPRsForWavesPerEU: 26
; AccumOffset: 28
; Occupancy: 8
; WaveLimiterHint : 0
; COMPUTE_PGM_RSRC2:SCRATCH_EN: 0
; COMPUTE_PGM_RSRC2:USER_SGPR: 2
; COMPUTE_PGM_RSRC2:TRAP_HANDLER: 0
; COMPUTE_PGM_RSRC2:TGID_X_EN: 1
; COMPUTE_PGM_RSRC2:TGID_Y_EN: 1
; COMPUTE_PGM_RSRC2:TGID_Z_EN: 0
; COMPUTE_PGM_RSRC2:TIDIG_COMP_CNT: 0
; COMPUTE_PGM_RSRC3_GFX90A:ACCUM_OFFSET: 6
; COMPUTE_PGM_RSRC3_GFX90A:TG_SPLIT: 0
	.section	.text._Z19mfma_kernel_genericIDF16_DF16_Li16ELi16ELi16EEvPKT_S2_PT0_iiii,"axG",@progbits,_Z19mfma_kernel_genericIDF16_DF16_Li16ELi16ELi16EEvPKT_S2_PT0_iiii,comdat
	.protected	_Z19mfma_kernel_genericIDF16_DF16_Li16ELi16ELi16EEvPKT_S2_PT0_iiii ; -- Begin function _Z19mfma_kernel_genericIDF16_DF16_Li16ELi16ELi16EEvPKT_S2_PT0_iiii
	.globl	_Z19mfma_kernel_genericIDF16_DF16_Li16ELi16ELi16EEvPKT_S2_PT0_iiii
	.p2align	8
	.type	_Z19mfma_kernel_genericIDF16_DF16_Li16ELi16ELi16EEvPKT_S2_PT0_iiii,@function
_Z19mfma_kernel_genericIDF16_DF16_Li16ELi16ELi16EEvPKT_S2_PT0_iiii: ; @_Z19mfma_kernel_genericIDF16_DF16_Li16ELi16ELi16EEvPKT_S2_PT0_iiii
; %bb.0:
	s_load_dwordx2 s[14:15], s[0:1], 0x10
	s_load_dwordx4 s[4:7], s[0:1], 0x18
	s_lshl_b32 s13, s2, 4
	s_lshl_b32 s12, s3, 4
	v_lshrrev_b32_e32 v1, 3, v0
	v_lshrrev_b32_e32 v4, 2, v0
	v_and_b32_e32 v6, 15, v0
	v_and_b32_e32 v7, 0x70, v1
	s_waitcnt lgkmcnt(0)
	s_cmp_lt_i32 s4, 1
	v_and_b32_e32 v5, 16, v4
	s_cbranch_scc1 .LBB2_3
; %bb.1:
	s_load_dwordx4 s[8:11], s[0:1], 0x0
	s_mul_i32 s0, s13, s5
	s_ashr_i32 s1, s0, 31
	s_lshl_b64 s[0:1], s[0:1], 1
	v_add_u32_e32 v1, v7, v6
	s_waitcnt lgkmcnt(0)
	s_add_u32 s0, s8, s0
	s_mul_i32 s8, s12, s6
	v_lshrrev_b32_e32 v0, 1, v0
	s_addc_u32 s1, s9, s1
	s_ashr_i32 s9, s8, 31
	v_mul_lo_u32 v1, s5, v1
	v_and_b32_e32 v0, 24, v0
	s_and_b32 s1, s1, 0xffff
	s_lshl_b64 s[8:9], s[8:9], 1
	v_lshl_add_u32 v8, v1, 1, v0
	v_add_u32_e32 v1, v5, v6
	s_add_u32 s8, s10, s8
	v_mul_lo_u32 v1, s6, v1
	s_mov_b32 s3, 0x20000
	s_mov_b32 s2, -1
	s_addc_u32 s9, s11, s9
	s_add_i32 s4, s4, 15
	v_lshl_add_u32 v9, v1, 1, v0
	v_mov_b32_e32 v0, 0
	s_and_b32 s9, s9, 0xffff
	s_lshr_b32 s4, s4, 4
	s_mov_b32 s10, s2
	s_mov_b32 s11, s3
	v_mov_b32_e32 v1, v0
	v_mov_b32_e32 v2, v0
	;; [unrolled: 1-line block ×3, first 2 shown]
.LBB2_2:                                ; =>This Inner Loop Header: Depth=1
	buffer_load_dwordx2 v[10:11], v9, s[8:11], 0 offen
	buffer_load_dwordx2 v[12:13], v8, s[0:3], 0 offen
	s_add_i32 s4, s4, -1
	v_add_u32_e32 v8, 32, v8
	s_cmp_eq_u32 s4, 0
	v_add_u32_e32 v9, 32, v9
	s_waitcnt vmcnt(0)
	v_mfma_f32_16x16x16_f16 v[0:3], v[10:11], v[12:13], v[0:3]
	s_cbranch_scc0 .LBB2_2
	s_branch .LBB2_4
.LBB2_3:
	v_mov_b32_e32 v3, 0
	v_mov_b32_e32 v2, v3
	;; [unrolled: 1-line block ×4, first 2 shown]
.LBB2_4:
	s_mul_i32 s0, s13, s7
	s_ashr_i32 s1, s0, 31
	s_lshl_b64 s[0:1], s[0:1], 1
	s_add_u32 s2, s14, s0
	s_nop 0
	v_cvt_f16_f32_e32 v2, v2
	v_cvt_f16_f32_e32 v3, v3
	v_or_b32_e32 v6, v7, v6
	s_addc_u32 s3, s15, s1
	s_ashr_i32 s13, s12, 31
	v_cvt_f16_f32_e32 v0, v0
	v_cvt_f16_f32_e32 v7, v1
	s_lshl_b64 s[0:1], s[12:13], 1
	s_add_u32 s0, s2, s0
	s_addc_u32 s1, s3, s1
	v_pack_b32_f16 v1, v2, v3
	v_mul_lo_u32 v2, v6, s7
	v_and_or_b32 v3, v4, 12, v5
	s_and_b32 s1, s1, 0xffff
	s_mov_b32 s3, 0x20000
	s_mov_b32 s2, -1
	v_pack_b32_f16 v0, v0, v7
	v_add_lshl_u32 v2, v3, v2, 1
	buffer_store_dwordx2 v[0:1], v2, s[0:3], 0 offen
	s_endpgm
	.section	.rodata,"a",@progbits
	.p2align	6, 0x0
	.amdhsa_kernel _Z19mfma_kernel_genericIDF16_DF16_Li16ELi16ELi16EEvPKT_S2_PT0_iiii
		.amdhsa_group_segment_fixed_size 0
		.amdhsa_private_segment_fixed_size 0
		.amdhsa_kernarg_size 40
		.amdhsa_user_sgpr_count 2
		.amdhsa_user_sgpr_dispatch_ptr 0
		.amdhsa_user_sgpr_queue_ptr 0
		.amdhsa_user_sgpr_kernarg_segment_ptr 1
		.amdhsa_user_sgpr_dispatch_id 0
		.amdhsa_user_sgpr_kernarg_preload_length 0
		.amdhsa_user_sgpr_kernarg_preload_offset 0
		.amdhsa_user_sgpr_private_segment_size 0
		.amdhsa_uses_dynamic_stack 0
		.amdhsa_enable_private_segment 0
		.amdhsa_system_sgpr_workgroup_id_x 1
		.amdhsa_system_sgpr_workgroup_id_y 1
		.amdhsa_system_sgpr_workgroup_id_z 0
		.amdhsa_system_sgpr_workgroup_info 0
		.amdhsa_system_vgpr_workitem_id 0
		.amdhsa_next_free_vgpr 14
		.amdhsa_next_free_sgpr 16
		.amdhsa_accum_offset 16
		.amdhsa_reserve_vcc 0
		.amdhsa_float_round_mode_32 0
		.amdhsa_float_round_mode_16_64 0
		.amdhsa_float_denorm_mode_32 3
		.amdhsa_float_denorm_mode_16_64 3
		.amdhsa_dx10_clamp 1
		.amdhsa_ieee_mode 1
		.amdhsa_fp16_overflow 0
		.amdhsa_tg_split 0
		.amdhsa_exception_fp_ieee_invalid_op 0
		.amdhsa_exception_fp_denorm_src 0
		.amdhsa_exception_fp_ieee_div_zero 0
		.amdhsa_exception_fp_ieee_overflow 0
		.amdhsa_exception_fp_ieee_underflow 0
		.amdhsa_exception_fp_ieee_inexact 0
		.amdhsa_exception_int_div_zero 0
	.end_amdhsa_kernel
	.section	.text._Z19mfma_kernel_genericIDF16_DF16_Li16ELi16ELi16EEvPKT_S2_PT0_iiii,"axG",@progbits,_Z19mfma_kernel_genericIDF16_DF16_Li16ELi16ELi16EEvPKT_S2_PT0_iiii,comdat
.Lfunc_end2:
	.size	_Z19mfma_kernel_genericIDF16_DF16_Li16ELi16ELi16EEvPKT_S2_PT0_iiii, .Lfunc_end2-_Z19mfma_kernel_genericIDF16_DF16_Li16ELi16ELi16EEvPKT_S2_PT0_iiii
                                        ; -- End function
	.section	.AMDGPU.csdata,"",@progbits
; Kernel info:
; codeLenInByte = 420
; NumSgprs: 22
; NumVgprs: 14
; NumAgprs: 0
; TotalNumVgprs: 14
; ScratchSize: 0
; MemoryBound: 0
; FloatMode: 240
; IeeeMode: 1
; LDSByteSize: 0 bytes/workgroup (compile time only)
; SGPRBlocks: 2
; VGPRBlocks: 1
; NumSGPRsForWavesPerEU: 22
; NumVGPRsForWavesPerEU: 14
; AccumOffset: 16
; Occupancy: 8
; WaveLimiterHint : 0
; COMPUTE_PGM_RSRC2:SCRATCH_EN: 0
; COMPUTE_PGM_RSRC2:USER_SGPR: 2
; COMPUTE_PGM_RSRC2:TRAP_HANDLER: 0
; COMPUTE_PGM_RSRC2:TGID_X_EN: 1
; COMPUTE_PGM_RSRC2:TGID_Y_EN: 1
; COMPUTE_PGM_RSRC2:TGID_Z_EN: 0
; COMPUTE_PGM_RSRC2:TIDIG_COMP_CNT: 0
; COMPUTE_PGM_RSRC3_GFX90A:ACCUM_OFFSET: 3
; COMPUTE_PGM_RSRC3_GFX90A:TG_SPLIT: 0
	.section	.text._Z19mfma_kernel_genericIttLi16ELi16ELi16EEvPKT_S2_PT0_iiii,"axG",@progbits,_Z19mfma_kernel_genericIttLi16ELi16ELi16EEvPKT_S2_PT0_iiii,comdat
	.protected	_Z19mfma_kernel_genericIttLi16ELi16ELi16EEvPKT_S2_PT0_iiii ; -- Begin function _Z19mfma_kernel_genericIttLi16ELi16ELi16EEvPKT_S2_PT0_iiii
	.globl	_Z19mfma_kernel_genericIttLi16ELi16ELi16EEvPKT_S2_PT0_iiii
	.p2align	8
	.type	_Z19mfma_kernel_genericIttLi16ELi16ELi16EEvPKT_S2_PT0_iiii,@function
_Z19mfma_kernel_genericIttLi16ELi16ELi16EEvPKT_S2_PT0_iiii: ; @_Z19mfma_kernel_genericIttLi16ELi16ELi16EEvPKT_S2_PT0_iiii
; %bb.0:
	s_load_dwordx2 s[14:15], s[0:1], 0x10
	s_load_dwordx4 s[4:7], s[0:1], 0x18
	v_lshrrev_b32_e32 v1, 3, v0
	s_lshl_b32 s13, s2, 4
	s_lshl_b32 s12, s3, 4
	v_and_b32_e32 v8, 0x70, v1
	v_lshrrev_b32_e32 v1, 2, v0
	v_and_b32_e32 v7, 15, v0
	v_and_b32_e32 v6, 16, v1
	s_waitcnt lgkmcnt(0)
	s_cmp_lt_i32 s4, 1
	v_mov_b32_e32 v5, 0
	v_mov_b32_e32 v4, 0
	;; [unrolled: 1-line block ×4, first 2 shown]
	s_cbranch_scc1 .LBB3_3
; %bb.1:
	s_load_dwordx4 s[8:11], s[0:1], 0x0
	s_mul_i32 s0, s13, s5
	s_ashr_i32 s1, s0, 31
	s_lshl_b64 s[0:1], s[0:1], 1
	v_add_u32_e32 v2, v8, v7
	s_waitcnt lgkmcnt(0)
	s_add_u32 s0, s8, s0
	s_mul_i32 s8, s12, s6
	v_lshrrev_b32_e32 v0, 1, v0
	s_addc_u32 s1, s9, s1
	s_ashr_i32 s9, s8, 31
	v_mul_lo_u32 v2, s5, v2
	v_and_b32_e32 v3, 24, v0
	s_and_b32 s1, s1, 0xffff
	s_lshl_b64 s[8:9], s[8:9], 1
	v_lshl_add_u32 v0, v2, 1, v3
	v_add_u32_e32 v2, v6, v7
	s_add_u32 s8, s10, s8
	v_mul_lo_u32 v2, s6, v2
	s_mov_b32 s3, 0x20000
	s_mov_b32 s2, -1
	s_addc_u32 s9, s11, s9
	s_add_i32 s4, s4, 15
	v_lshl_add_u32 v9, v2, 1, v3
	v_mov_b32_e32 v2, 0
	s_and_b32 s9, s9, 0xffff
	s_lshr_b32 s4, s4, 4
	s_mov_b32 s10, s2
	s_mov_b32 s11, s3
	v_mov_b32_e32 v3, v2
	v_mov_b32_e32 v4, v2
	;; [unrolled: 1-line block ×3, first 2 shown]
.LBB3_2:                                ; =>This Inner Loop Header: Depth=1
	buffer_load_dwordx2 v[10:11], v9, s[8:11], 0 offen
	buffer_load_dwordx2 v[12:13], v0, s[0:3], 0 offen
	s_add_i32 s4, s4, -1
	v_add_u32_e32 v0, 32, v0
	s_cmp_eq_u32 s4, 0
	v_add_u32_e32 v9, 32, v9
	s_waitcnt vmcnt(0)
	v_mfma_f32_16x16x16_bf16 v[2:5], v[10:11], v[12:13], v[2:5]
	s_cbranch_scc0 .LBB3_2
.LBB3_3:
	s_mov_b32 s0, 0x7f800000
	s_nop 4
	v_and_b32_e32 v0, 0x7f800000, v2
	v_cmp_ne_u32_e32 vcc, s0, v0
                                        ; implicit-def: $vgpr0
	s_and_saveexec_b64 s[0:1], vcc
	s_xor_b64 s[0:1], exec, s[0:1]
; %bb.4:
	v_bfe_u32 v0, v2, 16, 1
	s_movk_i32 s2, 0x7fff
	v_add3_u32 v0, v2, v0, s2
; %bb.5:
	s_andn2_saveexec_b64 s[0:1], s[0:1]
; %bb.6:
	v_mov_b32_e32 v0, 0
	v_or_b32_e32 v9, 0x10000, v2
	v_cmp_eq_u32_sdwa vcc, v2, v0 src0_sel:WORD_0 src1_sel:DWORD
	s_nop 1
	v_cndmask_b32_e32 v0, v9, v2, vcc
; %bb.7:
	s_or_b64 exec, exec, s[0:1]
	s_mov_b32 s0, 0x7f800000
	v_and_b32_e32 v2, 0x7f800000, v3
	v_cmp_ne_u32_e32 vcc, s0, v2
                                        ; implicit-def: $vgpr2
	s_and_saveexec_b64 s[0:1], vcc
	s_xor_b64 s[0:1], exec, s[0:1]
; %bb.8:
	v_bfe_u32 v2, v3, 16, 1
	s_movk_i32 s2, 0x7fff
	v_add3_u32 v2, v3, v2, s2
; %bb.9:
	s_andn2_saveexec_b64 s[0:1], s[0:1]
; %bb.10:
	v_mov_b32_e32 v2, 0
	v_or_b32_e32 v9, 0x10000, v3
	v_cmp_eq_u32_sdwa vcc, v3, v2 src0_sel:WORD_0 src1_sel:DWORD
	s_nop 1
	v_cndmask_b32_e32 v2, v9, v3, vcc
; %bb.11:
	s_or_b64 exec, exec, s[0:1]
	s_mov_b32 s0, 0x7f800000
	v_and_b32_e32 v3, 0x7f800000, v4
	v_cmp_ne_u32_e32 vcc, s0, v3
                                        ; implicit-def: $vgpr3
	s_and_saveexec_b64 s[0:1], vcc
	s_xor_b64 s[0:1], exec, s[0:1]
; %bb.12:
	v_bfe_u32 v3, v4, 16, 1
	s_movk_i32 s2, 0x7fff
	v_add3_u32 v3, v4, v3, s2
; %bb.13:
	s_andn2_saveexec_b64 s[0:1], s[0:1]
; %bb.14:
	v_mov_b32_e32 v3, 0
	v_or_b32_e32 v9, 0x10000, v4
	v_cmp_eq_u32_sdwa vcc, v4, v3 src0_sel:WORD_0 src1_sel:DWORD
	s_nop 1
	v_cndmask_b32_e32 v3, v9, v4, vcc
; %bb.15:
	s_or_b64 exec, exec, s[0:1]
	s_mov_b32 s0, 0x7f800000
	v_and_b32_e32 v4, 0x7f800000, v5
	v_cmp_ne_u32_e32 vcc, s0, v4
                                        ; implicit-def: $vgpr4
	s_and_saveexec_b64 s[0:1], vcc
	s_xor_b64 s[0:1], exec, s[0:1]
; %bb.16:
	v_bfe_u32 v4, v5, 16, 1
	s_movk_i32 s2, 0x7fff
	v_add3_u32 v4, v5, v4, s2
                                        ; implicit-def: $vgpr5
; %bb.17:
	s_andn2_saveexec_b64 s[0:1], s[0:1]
; %bb.18:
	v_mov_b32_e32 v4, 0
	v_or_b32_e32 v9, 0x10000, v5
	v_cmp_eq_u32_sdwa vcc, v5, v4 src0_sel:WORD_0 src1_sel:DWORD
	s_nop 1
	v_cndmask_b32_e32 v4, v9, v5, vcc
; %bb.19:
	s_or_b64 exec, exec, s[0:1]
	s_mul_i32 s0, s13, s7
	s_ashr_i32 s1, s0, 31
	s_lshl_b64 s[0:1], s[0:1], 1
	s_add_u32 s2, s14, s0
	s_addc_u32 s3, s15, s1
	s_ashr_i32 s13, s12, 31
	s_lshl_b64 s[0:1], s[12:13], 1
	v_or_b32_e32 v5, v8, v7
	s_add_u32 s0, s2, s0
	s_mov_b32 s4, 0x7060302
	s_addc_u32 s1, s3, s1
	v_perm_b32 v2, v2, v0, s4
	v_mul_lo_u32 v0, v5, s7
	v_and_or_b32 v1, v1, 12, v6
	s_and_b32 s1, s1, 0xffff
	s_mov_b32 s3, 0x20000
	s_mov_b32 s2, -1
	v_perm_b32 v3, v4, v3, s4
	v_add_lshl_u32 v0, v1, v0, 1
	buffer_store_dwordx2 v[2:3], v0, s[0:3], 0 offen
	s_endpgm
	.section	.rodata,"a",@progbits
	.p2align	6, 0x0
	.amdhsa_kernel _Z19mfma_kernel_genericIttLi16ELi16ELi16EEvPKT_S2_PT0_iiii
		.amdhsa_group_segment_fixed_size 0
		.amdhsa_private_segment_fixed_size 0
		.amdhsa_kernarg_size 40
		.amdhsa_user_sgpr_count 2
		.amdhsa_user_sgpr_dispatch_ptr 0
		.amdhsa_user_sgpr_queue_ptr 0
		.amdhsa_user_sgpr_kernarg_segment_ptr 1
		.amdhsa_user_sgpr_dispatch_id 0
		.amdhsa_user_sgpr_kernarg_preload_length 0
		.amdhsa_user_sgpr_kernarg_preload_offset 0
		.amdhsa_user_sgpr_private_segment_size 0
		.amdhsa_uses_dynamic_stack 0
		.amdhsa_enable_private_segment 0
		.amdhsa_system_sgpr_workgroup_id_x 1
		.amdhsa_system_sgpr_workgroup_id_y 1
		.amdhsa_system_sgpr_workgroup_id_z 0
		.amdhsa_system_sgpr_workgroup_info 0
		.amdhsa_system_vgpr_workitem_id 0
		.amdhsa_next_free_vgpr 14
		.amdhsa_next_free_sgpr 16
		.amdhsa_accum_offset 16
		.amdhsa_reserve_vcc 1
		.amdhsa_float_round_mode_32 0
		.amdhsa_float_round_mode_16_64 0
		.amdhsa_float_denorm_mode_32 3
		.amdhsa_float_denorm_mode_16_64 3
		.amdhsa_dx10_clamp 1
		.amdhsa_ieee_mode 1
		.amdhsa_fp16_overflow 0
		.amdhsa_tg_split 0
		.amdhsa_exception_fp_ieee_invalid_op 0
		.amdhsa_exception_fp_denorm_src 0
		.amdhsa_exception_fp_ieee_div_zero 0
		.amdhsa_exception_fp_ieee_overflow 0
		.amdhsa_exception_fp_ieee_underflow 0
		.amdhsa_exception_fp_ieee_inexact 0
		.amdhsa_exception_int_div_zero 0
	.end_amdhsa_kernel
	.section	.text._Z19mfma_kernel_genericIttLi16ELi16ELi16EEvPKT_S2_PT0_iiii,"axG",@progbits,_Z19mfma_kernel_genericIttLi16ELi16ELi16EEvPKT_S2_PT0_iiii,comdat
.Lfunc_end3:
	.size	_Z19mfma_kernel_genericIttLi16ELi16ELi16EEvPKT_S2_PT0_iiii, .Lfunc_end3-_Z19mfma_kernel_genericIttLi16ELi16ELi16EEvPKT_S2_PT0_iiii
                                        ; -- End function
	.section	.AMDGPU.csdata,"",@progbits
; Kernel info:
; codeLenInByte = 744
; NumSgprs: 22
; NumVgprs: 14
; NumAgprs: 0
; TotalNumVgprs: 14
; ScratchSize: 0
; MemoryBound: 0
; FloatMode: 240
; IeeeMode: 1
; LDSByteSize: 0 bytes/workgroup (compile time only)
; SGPRBlocks: 2
; VGPRBlocks: 1
; NumSGPRsForWavesPerEU: 22
; NumVGPRsForWavesPerEU: 14
; AccumOffset: 16
; Occupancy: 8
; WaveLimiterHint : 0
; COMPUTE_PGM_RSRC2:SCRATCH_EN: 0
; COMPUTE_PGM_RSRC2:USER_SGPR: 2
; COMPUTE_PGM_RSRC2:TRAP_HANDLER: 0
; COMPUTE_PGM_RSRC2:TGID_X_EN: 1
; COMPUTE_PGM_RSRC2:TGID_Y_EN: 1
; COMPUTE_PGM_RSRC2:TGID_Z_EN: 0
; COMPUTE_PGM_RSRC2:TIDIG_COMP_CNT: 0
; COMPUTE_PGM_RSRC3_GFX90A:ACCUM_OFFSET: 3
; COMPUTE_PGM_RSRC3_GFX90A:TG_SPLIT: 0
	.text
	.p2alignl 6, 3212836864
	.fill 256, 4, 3212836864
	.type	__hip_cuid_afe6040a08f5ed23,@object ; @__hip_cuid_afe6040a08f5ed23
	.section	.bss,"aw",@nobits
	.globl	__hip_cuid_afe6040a08f5ed23
__hip_cuid_afe6040a08f5ed23:
	.byte	0                               ; 0x0
	.size	__hip_cuid_afe6040a08f5ed23, 1

	.ident	"AMD clang version 19.0.0git (https://github.com/RadeonOpenCompute/llvm-project roc-6.4.0 25133 c7fe45cf4b819c5991fe208aaa96edf142730f1d)"
	.section	".note.GNU-stack","",@progbits
	.addrsig
	.addrsig_sym __hip_cuid_afe6040a08f5ed23
	.amdgpu_metadata
---
amdhsa.kernels:
  - .agpr_count:     0
    .args:
      - .actual_access:  read_only
        .address_space:  global
        .offset:         0
        .size:           8
        .value_kind:     global_buffer
      - .actual_access:  read_only
        .address_space:  global
        .offset:         8
        .size:           8
        .value_kind:     global_buffer
      - .actual_access:  write_only
        .address_space:  global
        .offset:         16
        .size:           8
        .value_kind:     global_buffer
      - .offset:         24
        .size:           4
        .value_kind:     by_value
      - .offset:         28
        .size:           4
        .value_kind:     by_value
      - .offset:         32
        .size:           4
        .value_kind:     by_value
      - .offset:         36
        .size:           4
        .value_kind:     by_value
    .group_segment_fixed_size: 0
    .kernarg_segment_align: 8
    .kernarg_segment_size: 40
    .language:       OpenCL C
    .language_version:
      - 2
      - 0
    .max_flat_workgroup_size: 1024
    .name:           _Z19mfma_kernel_genericIDF16_DF16_Li32ELi32ELi8EEvPKT_S2_PT0_iiii
    .private_segment_fixed_size: 0
    .sgpr_count:     22
    .sgpr_spill_count: 0
    .symbol:         _Z19mfma_kernel_genericIDF16_DF16_Li32ELi32ELi8EEvPKT_S2_PT0_iiii.kd
    .uniform_work_group_size: 1
    .uses_dynamic_stack: false
    .vgpr_count:     26
    .vgpr_spill_count: 0
    .wavefront_size: 64
  - .agpr_count:     0
    .args:
      - .actual_access:  read_only
        .address_space:  global
        .offset:         0
        .size:           8
        .value_kind:     global_buffer
      - .actual_access:  read_only
        .address_space:  global
        .offset:         8
        .size:           8
        .value_kind:     global_buffer
      - .actual_access:  write_only
        .address_space:  global
        .offset:         16
        .size:           8
        .value_kind:     global_buffer
      - .offset:         24
        .size:           4
        .value_kind:     by_value
      - .offset:         28
        .size:           4
        .value_kind:     by_value
      - .offset:         32
        .size:           4
        .value_kind:     by_value
      - .offset:         36
        .size:           4
        .value_kind:     by_value
    .group_segment_fixed_size: 0
    .kernarg_segment_align: 8
    .kernarg_segment_size: 40
    .language:       OpenCL C
    .language_version:
      - 2
      - 0
    .max_flat_workgroup_size: 1024
    .name:           _Z19mfma_kernel_genericIttLi32ELi32ELi8EEvPKT_S2_PT0_iiii
    .private_segment_fixed_size: 0
    .sgpr_count:     22
    .sgpr_spill_count: 0
    .symbol:         _Z19mfma_kernel_genericIttLi32ELi32ELi8EEvPKT_S2_PT0_iiii.kd
    .uniform_work_group_size: 1
    .uses_dynamic_stack: false
    .vgpr_count:     26
    .vgpr_spill_count: 0
    .wavefront_size: 64
  - .agpr_count:     0
    .args:
      - .actual_access:  read_only
        .address_space:  global
        .offset:         0
        .size:           8
        .value_kind:     global_buffer
      - .actual_access:  read_only
        .address_space:  global
        .offset:         8
        .size:           8
        .value_kind:     global_buffer
      - .actual_access:  write_only
        .address_space:  global
        .offset:         16
        .size:           8
        .value_kind:     global_buffer
      - .offset:         24
        .size:           4
        .value_kind:     by_value
      - .offset:         28
        .size:           4
        .value_kind:     by_value
      - .offset:         32
        .size:           4
        .value_kind:     by_value
      - .offset:         36
        .size:           4
        .value_kind:     by_value
    .group_segment_fixed_size: 0
    .kernarg_segment_align: 8
    .kernarg_segment_size: 40
    .language:       OpenCL C
    .language_version:
      - 2
      - 0
    .max_flat_workgroup_size: 1024
    .name:           _Z19mfma_kernel_genericIDF16_DF16_Li16ELi16ELi16EEvPKT_S2_PT0_iiii
    .private_segment_fixed_size: 0
    .sgpr_count:     22
    .sgpr_spill_count: 0
    .symbol:         _Z19mfma_kernel_genericIDF16_DF16_Li16ELi16ELi16EEvPKT_S2_PT0_iiii.kd
    .uniform_work_group_size: 1
    .uses_dynamic_stack: false
    .vgpr_count:     14
    .vgpr_spill_count: 0
    .wavefront_size: 64
  - .agpr_count:     0
    .args:
      - .actual_access:  read_only
        .address_space:  global
        .offset:         0
        .size:           8
        .value_kind:     global_buffer
      - .actual_access:  read_only
        .address_space:  global
        .offset:         8
        .size:           8
        .value_kind:     global_buffer
      - .actual_access:  write_only
        .address_space:  global
        .offset:         16
        .size:           8
        .value_kind:     global_buffer
      - .offset:         24
        .size:           4
        .value_kind:     by_value
      - .offset:         28
        .size:           4
        .value_kind:     by_value
      - .offset:         32
        .size:           4
        .value_kind:     by_value
      - .offset:         36
        .size:           4
        .value_kind:     by_value
    .group_segment_fixed_size: 0
    .kernarg_segment_align: 8
    .kernarg_segment_size: 40
    .language:       OpenCL C
    .language_version:
      - 2
      - 0
    .max_flat_workgroup_size: 1024
    .name:           _Z19mfma_kernel_genericIttLi16ELi16ELi16EEvPKT_S2_PT0_iiii
    .private_segment_fixed_size: 0
    .sgpr_count:     22
    .sgpr_spill_count: 0
    .symbol:         _Z19mfma_kernel_genericIttLi16ELi16ELi16EEvPKT_S2_PT0_iiii.kd
    .uniform_work_group_size: 1
    .uses_dynamic_stack: false
    .vgpr_count:     14
    .vgpr_spill_count: 0
    .wavefront_size: 64
amdhsa.target:   amdgcn-amd-amdhsa--gfx942
amdhsa.version:
  - 1
  - 2
...

	.end_amdgpu_metadata
